;; amdgpu-corpus repo=ROCm/rocFFT kind=compiled arch=gfx1201 opt=O3
	.text
	.amdgcn_target "amdgcn-amd-amdhsa--gfx1201"
	.amdhsa_code_object_version 6
	.protected	fft_rtc_back_len96_factors_2_2_3_8_wgs_64_tpt_8_dim1_sp_op_CI_CI_unitstride_sbrr_R2C_dirReg ; -- Begin function fft_rtc_back_len96_factors_2_2_3_8_wgs_64_tpt_8_dim1_sp_op_CI_CI_unitstride_sbrr_R2C_dirReg
	.globl	fft_rtc_back_len96_factors_2_2_3_8_wgs_64_tpt_8_dim1_sp_op_CI_CI_unitstride_sbrr_R2C_dirReg
	.p2align	8
	.type	fft_rtc_back_len96_factors_2_2_3_8_wgs_64_tpt_8_dim1_sp_op_CI_CI_unitstride_sbrr_R2C_dirReg,@function
fft_rtc_back_len96_factors_2_2_3_8_wgs_64_tpt_8_dim1_sp_op_CI_CI_unitstride_sbrr_R2C_dirReg: ; @fft_rtc_back_len96_factors_2_2_3_8_wgs_64_tpt_8_dim1_sp_op_CI_CI_unitstride_sbrr_R2C_dirReg
; %bb.0:
	s_clause 0x1
	s_load_b64 s[2:3], s[0:1], 0x20
	s_load_b64 s[6:7], s[0:1], 0x0
	v_lshrrev_b32_e32 v1, 3, v0
	v_dual_mov_b32 v29, 0 :: v_dual_and_b32 v24, 7, v0
                                        ; implicit-def: $vgpr26
                                        ; implicit-def: $vgpr35
                                        ; implicit-def: $vgpr33
                                        ; implicit-def: $vgpr31
	s_delay_alu instid0(VALU_DEP_2) | instskip(SKIP_1) | instid1(VALU_DEP_1)
	v_lshl_or_b32 v28, ttmp9, 3, v1
	s_wait_kmcnt 0x0
	v_cmp_gt_u64_e32 vcc_lo, s[2:3], v[28:29]
	v_cmp_le_u64_e64 s2, s[2:3], v[28:29]
                                        ; implicit-def: $vgpr29
	s_delay_alu instid0(VALU_DEP_1)
	s_and_saveexec_b32 s3, s2
	s_wait_alu 0xfffe
	s_xor_b32 s2, exec_lo, s3
; %bb.1:
	v_and_b32_e32 v24, 7, v0
	s_delay_alu instid0(VALU_DEP_1)
	v_or_b32_e32 v26, 8, v24
	v_or_b32_e32 v35, 16, v24
	;; [unrolled: 1-line block ×5, first 2 shown]
; %bb.2:
	s_wait_alu 0xfffe
	s_or_saveexec_b32 s3, s2
	s_load_b64 s[4:5], s[0:1], 0x18
	v_mul_u32_u24_e32 v1, 0x61, v1
	s_delay_alu instid0(VALU_DEP_1)
	v_lshlrev_b32_e32 v1, 3, v1
	s_xor_b32 exec_lo, exec_lo, s3
	s_cbranch_execz .LBB0_4
; %bb.3:
	s_clause 0x1
	s_load_b64 s[8:9], s[0:1], 0x10
	s_load_b64 s[10:11], s[0:1], 0x50
	v_lshlrev_b32_e32 v25, 3, v24
	v_or_b32_e32 v26, 8, v24
	v_or_b32_e32 v35, 16, v24
	;; [unrolled: 1-line block ×5, first 2 shown]
	s_wait_kmcnt 0x0
	s_load_b64 s[8:9], s[8:9], 0x8
	s_wait_kmcnt 0x0
	v_mad_co_u64_u32 v[2:3], null, s8, v28, 0
	s_delay_alu instid0(VALU_DEP_1) | instskip(NEXT) | instid1(VALU_DEP_1)
	v_mad_co_u64_u32 v[3:4], null, s9, v28, v[3:4]
	v_lshlrev_b64_e32 v[2:3], 3, v[2:3]
	s_delay_alu instid0(VALU_DEP_1) | instskip(SKIP_1) | instid1(VALU_DEP_2)
	v_add_co_u32 v2, s2, s10, v2
	s_wait_alu 0xf1ff
	v_add_co_ci_u32_e64 v3, s2, s11, v3, s2
	s_delay_alu instid0(VALU_DEP_2) | instskip(SKIP_1) | instid1(VALU_DEP_2)
	v_add_co_u32 v2, s2, v2, v25
	s_wait_alu 0xf1ff
	v_add_co_ci_u32_e64 v3, s2, 0, v3, s2
	v_add3_u32 v25, 0, v1, v25
	s_clause 0xb
	global_load_b64 v[4:5], v[2:3], off
	global_load_b64 v[6:7], v[2:3], off offset:64
	global_load_b64 v[8:9], v[2:3], off offset:128
	;; [unrolled: 1-line block ×11, first 2 shown]
	s_wait_loadcnt 0xa
	ds_store_2addr_b64 v25, v[4:5], v[6:7] offset1:8
	s_wait_loadcnt 0x8
	ds_store_2addr_b64 v25, v[8:9], v[10:11] offset0:16 offset1:24
	s_wait_loadcnt 0x6
	ds_store_2addr_b64 v25, v[12:13], v[14:15] offset0:32 offset1:40
	;; [unrolled: 2-line block ×5, first 2 shown]
.LBB0_4:
	s_or_b32 exec_lo, exec_lo, s3
	v_lshlrev_b32_e32 v25, 3, v24
	v_add_nc_u32_e32 v44, 0, v1
	s_wait_kmcnt 0x0
	s_load_b64 s[4:5], s[4:5], 0x8
	global_wb scope:SCOPE_SE
	s_wait_dscnt 0x0
	s_wait_kmcnt 0x0
	s_barrier_signal -1
	v_add3_u32 v27, 0, v25, v1
	v_add_nc_u32_e32 v45, v44, v25
	s_barrier_wait -1
	global_inv scope:SCOPE_SE
	v_cmp_gt_u32_e64 s2, 4, v24
	ds_load_2addr_b64 v[1:4], v27 offset0:40 offset1:48
	ds_load_b64 v[21:22], v45
	ds_load_2addr_b64 v[5:8], v27 offset0:8 offset1:16
	ds_load_2addr_b64 v[9:12], v27 offset0:56 offset1:64
	;; [unrolled: 1-line block ×4, first 2 shown]
	ds_load_b64 v[36:37], v27 offset:704
	global_wb scope:SCOPE_SE
	s_wait_dscnt 0x0
	s_barrier_signal -1
	s_barrier_wait -1
	global_inv scope:SCOPE_SE
	v_dual_sub_f32 v4, v22, v4 :: v_dual_sub_f32 v3, v21, v3
	v_dual_sub_f32 v9, v5, v9 :: v_dual_sub_f32 v12, v8, v12
	;; [unrolled: 1-line block ×3, first 2 shown]
	v_sub_f32_e32 v18, v14, v18
	s_delay_alu instid0(VALU_DEP_4)
	v_fma_f32 v21, v21, 2.0, -v3
	v_fma_f32 v22, v22, 2.0, -v4
	v_add_nc_u32_e32 v23, v27, v25
	v_dual_sub_f32 v17, v13, v17 :: v_dual_sub_f32 v20, v16, v20
	v_fma_f32 v5, v5, 2.0, -v9
	v_fma_f32 v6, v6, 2.0, -v10
	v_lshl_add_u32 v30, v26, 4, v44
	v_dual_sub_f32 v19, v15, v19 :: v_dual_sub_f32 v36, v1, v36
	v_sub_f32_e32 v37, v2, v37
	v_fma_f32 v7, v7, 2.0, -v11
	v_fma_f32 v8, v8, 2.0, -v12
	ds_store_2addr_b64 v23, v[21:22], v[3:4] offset1:1
	ds_store_2addr_b64 v30, v[5:6], v[9:10] offset1:1
	v_lshl_add_u32 v3, v35, 4, v44
	v_and_b32_e32 v9, 1, v0
	v_fma_f32 v13, v13, 2.0, -v17
	v_fma_f32 v14, v14, 2.0, -v18
	v_lshl_add_u32 v4, v33, 4, v44
	v_fma_f32 v15, v15, 2.0, -v19
	v_fma_f32 v16, v16, 2.0, -v20
	v_lshl_add_u32 v5, v31, 4, v44
	;; [unrolled: 3-line block ×3, first 2 shown]
	ds_store_2addr_b64 v3, v[7:8], v[11:12] offset1:1
	ds_store_2addr_b64 v4, v[13:14], v[17:18] offset1:1
	;; [unrolled: 1-line block ×4, first 2 shown]
	v_lshlrev_b32_e32 v1, 3, v9
	global_wb scope:SCOPE_SE
	s_wait_dscnt 0x0
	s_barrier_signal -1
	s_barrier_wait -1
	global_inv scope:SCOPE_SE
	global_load_b64 v[12:13], v1, s[6:7]
	v_lshlrev_b32_e32 v1, 1, v24
	v_lshlrev_b32_e32 v2, 1, v26
	;; [unrolled: 1-line block ×3, first 2 shown]
	v_and_b32_e32 v34, 3, v0
	v_lshlrev_b32_e32 v7, 1, v35
	v_and_or_b32 v19, v1, 12, v9
	v_and_or_b32 v20, v2, 28, v9
	v_sub_nc_u32_e32 v39, v3, v15
	ds_load_2addr_b64 v[0:3], v27 offset0:48 offset1:56
	v_lshlrev_b32_e32 v8, 1, v33
	v_lshlrev_b32_e32 v10, 1, v31
	;; [unrolled: 1-line block ×5, first 2 shown]
	v_lshl_add_u32 v41, v19, 3, v44
	v_lshl_add_u32 v43, v20, 3, v44
	v_sub_nc_u32_e32 v32, v30, v14
	v_sub_nc_u32_e32 v42, v4, v16
	;; [unrolled: 1-line block ×3, first 2 shown]
	s_wait_loadcnt_dscnt 0x0
	v_mul_f32_e32 v50, v13, v1
	v_lshlrev_b32_e32 v11, 1, v29
	v_mul_f32_e32 v51, v13, v0
	v_and_or_b32 v8, v8, 60, v9
	s_delay_alu instid0(VALU_DEP_4)
	v_dual_mul_f32 v53, v13, v2 :: v_dual_fmac_f32 v50, v12, v0
	v_and_or_b32 v10, 0x4c, v10, v9
	v_and_or_b32 v21, v7, 44, v9
	v_and_or_b32 v22, 0x5c, v11, v9
	v_lshl_add_u32 v47, v8, 3, v44
	v_mul_f32_e32 v52, v13, v3
	v_lshl_add_u32 v48, v10, 3, v44
	ds_load_2addr_b64 v[8:11], v27 offset0:80 offset1:88
	v_lshlrev_b32_e32 v18, 3, v29
	v_lshl_add_u32 v46, v21, 3, v44
	v_lshl_add_u32 v49, v22, 3, v44
	v_fma_f32 v1, v12, v1, -v51
	v_fmac_f32_e32 v52, v12, v2
	v_fma_f32 v3, v12, v3, -v53
	s_wait_dscnt 0x0
	v_mul_f32_e32 v59, v13, v8
	v_sub_nc_u32_e32 v40, v6, v18
	ds_load_2addr_b64 v[4:7], v27 offset0:64 offset1:72
	ds_load_b64 v[14:15], v45
	ds_load_b64 v[16:17], v32
	;; [unrolled: 1-line block ×6, first 2 shown]
	v_mul_f32_e32 v58, v13, v9
	v_fma_f32 v9, v12, v9, -v59
	global_wb scope:SCOPE_SE
	s_wait_dscnt 0x0
	s_barrier_signal -1
	s_barrier_wait -1
	global_inv scope:SCOPE_SE
	v_dual_sub_f32 v1, v15, v1 :: v_dual_sub_f32 v2, v16, v52
	v_sub_f32_e32 v3, v17, v3
	v_sub_f32_e32 v9, v21, v9
	v_mul_f32_e32 v55, v13, v4
	v_mul_f32_e32 v54, v13, v5
	;; [unrolled: 1-line block ×4, first 2 shown]
	v_fma_f32 v21, v21, 2.0, -v9
	v_fma_f32 v5, v12, v5, -v55
	v_mul_f32_e32 v60, v13, v11
	v_dual_mul_f32 v13, v13, v10 :: v_dual_fmac_f32 v54, v12, v4
	v_fmac_f32_e32 v56, v12, v6
	v_fma_f32 v7, v12, v7, -v57
	v_fmac_f32_e32 v58, v12, v8
	v_lshlrev_b32_e32 v38, 4, v34
	v_fma_f32 v11, v12, v11, -v13
	v_dual_sub_f32 v0, v14, v50 :: v_dual_sub_f32 v5, v19, v5
	v_fmac_f32_e32 v60, v12, v10
	v_sub_f32_e32 v4, v18, v54
	v_dual_sub_f32 v6, v22, v56 :: v_dual_sub_f32 v7, v23, v7
	v_sub_f32_e32 v8, v20, v58
	s_delay_alu instid0(VALU_DEP_4)
	v_dual_sub_f32 v10, v36, v60 :: v_dual_sub_f32 v11, v37, v11
	v_fma_f32 v12, v14, 2.0, -v0
	v_fma_f32 v13, v15, 2.0, -v1
	;; [unrolled: 1-line block ×11, first 2 shown]
	ds_store_2addr_b64 v41, v[12:13], v[0:1] offset1:2
	ds_store_2addr_b64 v43, v[14:15], v[2:3] offset1:2
	;; [unrolled: 1-line block ×6, first 2 shown]
	global_wb scope:SCOPE_SE
	s_wait_dscnt 0x0
	s_barrier_signal -1
	s_barrier_wait -1
	global_inv scope:SCOPE_SE
	global_load_b128 v[4:7], v38, s[6:7] offset:16
	v_lshrrev_b32_e32 v0, 2, v26
	v_lshrrev_b32_e32 v1, 2, v24
	;; [unrolled: 1-line block ×4, first 2 shown]
	ds_load_2addr_b64 v[16:19], v27 offset0:80 offset1:88
	v_mul_lo_u32 v8, v0, 12
	v_mul_u32_u24_e32 v0, 12, v1
	v_mul_lo_u32 v2, v2, 12
	v_mul_lo_u32 v3, v3, 12
	ds_load_b64 v[20:21], v40
	v_or_b32_e32 v12, v0, v34
	ds_load_b64 v[0:1], v30
	v_or_b32_e32 v13, v8, v34
	ds_load_2addr_b64 v[8:11], v27 offset0:64 offset1:72
	v_or_b32_e32 v2, v2, v34
	v_or_b32_e32 v3, v3, v34
	v_lshl_add_u32 v34, v12, 3, v44
	v_lshl_add_u32 v43, v13, 3, v44
	ds_load_2addr_b64 v[12:15], v27 offset0:48 offset1:56
	v_lshl_add_u32 v46, v2, 3, v44
	v_lshl_add_u32 v47, v3, 3, v44
	ds_load_b64 v[22:23], v45
	ds_load_b64 v[36:37], v39
	;; [unrolled: 1-line block ×4, first 2 shown]
	global_wb scope:SCOPE_SE
	s_wait_loadcnt_dscnt 0x0
	s_barrier_signal -1
	s_barrier_wait -1
	global_inv scope:SCOPE_SE
	v_mul_f32_e32 v59, v19, v7
	v_dual_mul_f32 v48, v7, v9 :: v_dual_mul_f32 v55, v5, v12
	v_mul_f32_e32 v52, v7, v11
	v_dual_mul_f32 v38, v5, v1 :: v_dual_mul_f32 v49, v7, v8
	v_mul_f32_e32 v39, v5, v0
	v_mul_f32_e32 v53, v7, v10
	v_fmac_f32_e32 v59, v18, v6
	v_fmac_f32_e32 v52, v6, v10
	v_fma_f32 v10, v4, v13, -v55
	v_dual_mul_f32 v50, v5, v21 :: v_dual_mul_f32 v57, v7, v16
	v_mul_f32_e32 v51, v5, v20
	v_fmac_f32_e32 v38, v4, v0
	v_fma_f32 v0, v4, v1, -v39
	v_add_f32_e32 v39, v37, v10
	v_fma_f32 v1, v6, v9, -v49
	v_mul_f32_e32 v58, v5, v15
	v_mul_f32_e32 v54, v5, v13
	v_dual_mul_f32 v56, v7, v17 :: v_dual_mul_f32 v5, v5, v14
	v_mul_f32_e32 v7, v18, v7
	v_fma_f32 v9, v6, v11, -v53
	v_sub_f32_e32 v13, v0, v1
	v_fmac_f32_e32 v58, v4, v14
	v_fmac_f32_e32 v50, v4, v20
	;; [unrolled: 1-line block ×3, first 2 shown]
	v_fma_f32 v8, v4, v21, -v51
	v_fmac_f32_e32 v54, v4, v12
	v_fma_f32 v11, v6, v17, -v57
	v_fma_f32 v4, v4, v15, -v5
	;; [unrolled: 1-line block ×3, first 2 shown]
	v_add_f32_e32 v5, v22, v38
	v_dual_fmac_f32 v56, v6, v16 :: v_dual_sub_f32 v17, v8, v9
	v_add_f32_e32 v7, v23, v0
	v_add_f32_e32 v51, v58, v59
	v_dual_add_f32 v15, v40, v50 :: v_dual_add_f32 v6, v38, v48
	v_sub_f32_e32 v19, v50, v52
	v_dual_sub_f32 v57, v58, v59 :: v_dual_add_f32 v0, v0, v1
	v_add_f32_e32 v21, v54, v56
	v_sub_f32_e32 v14, v38, v48
	v_dual_sub_f32 v38, v10, v11 :: v_dual_sub_f32 v53, v4, v12
	v_dual_add_f32 v10, v10, v11 :: v_dual_add_f32 v55, v4, v12
	v_add_f32_e32 v16, v50, v52
	v_add_f32_e32 v18, v41, v8
	v_dual_add_f32 v8, v8, v9 :: v_dual_sub_f32 v49, v54, v56
	v_dual_add_f32 v20, v36, v54 :: v_dual_fmac_f32 v23, -0.5, v0
	v_add_f32_e32 v54, v3, v4
	v_dual_add_f32 v4, v5, v48 :: v_dual_add_f32 v5, v7, v1
	v_fma_f32 v22, -0.5, v6, v22
	v_dual_add_f32 v50, v2, v58 :: v_dual_fmac_f32 v41, -0.5, v8
	v_fmac_f32_e32 v37, -0.5, v10
	v_fma_f32 v40, -0.5, v16, v40
	v_fma_f32 v36, -0.5, v21, v36
	;; [unrolled: 1-line block ×3, first 2 shown]
	v_fmac_f32_e32 v3, -0.5, v55
	v_add_f32_e32 v7, v18, v9
	v_add_f32_e32 v9, v39, v11
	v_dual_add_f32 v1, v54, v12 :: v_dual_fmamk_f32 v10, v13, 0xbf5db3d7, v22
	v_dual_fmamk_f32 v11, v14, 0x3f5db3d7, v23 :: v_dual_add_f32 v6, v15, v52
	v_fmac_f32_e32 v23, 0xbf5db3d7, v14
	v_dual_fmac_f32 v22, 0x3f5db3d7, v13 :: v_dual_fmamk_f32 v39, v57, 0x3f5db3d7, v3
	v_dual_add_f32 v8, v20, v56 :: v_dual_fmamk_f32 v13, v19, 0x3f5db3d7, v41
	v_dual_fmamk_f32 v12, v17, 0xbf5db3d7, v40 :: v_dual_fmac_f32 v41, 0xbf5db3d7, v19
	v_fmac_f32_e32 v40, 0x3f5db3d7, v17
	v_dual_add_f32 v0, v50, v59 :: v_dual_fmamk_f32 v15, v49, 0x3f5db3d7, v37
	v_dual_fmamk_f32 v14, v38, 0xbf5db3d7, v36 :: v_dual_fmac_f32 v37, 0xbf5db3d7, v49
	v_fmac_f32_e32 v36, 0x3f5db3d7, v38
	v_dual_fmamk_f32 v38, v53, 0xbf5db3d7, v2 :: v_dual_fmac_f32 v3, 0xbf5db3d7, v57
	v_fmac_f32_e32 v2, 0x3f5db3d7, v53
	ds_store_2addr_b64 v34, v[4:5], v[10:11] offset1:4
	ds_store_b64 v34, v[22:23] offset:64
	ds_store_2addr_b64 v43, v[6:7], v[12:13] offset1:4
	ds_store_b64 v43, v[40:41] offset:64
	;; [unrolled: 2-line block ×4, first 2 shown]
	global_wb scope:SCOPE_SE
	s_wait_dscnt 0x0
	s_barrier_signal -1
	s_barrier_wait -1
	global_inv scope:SCOPE_SE
	ds_load_2addr_b64 v[12:15], v27 offset0:12 offset1:36
	ds_load_b64 v[40:41], v45
	ds_load_b64 v[42:43], v42
	ds_load_2addr_b64 v[20:23], v27 offset0:48 offset1:60
	ds_load_2addr_b64 v[16:19], v27 offset0:72 offset1:84
                                        ; implicit-def: $vgpr5
                                        ; implicit-def: $vgpr9
	s_and_saveexec_b32 s3, s2
	s_cbranch_execz .LBB0_6
; %bb.5:
	ds_load_2addr_b64 v[0:3], v27 offset0:20 offset1:44
	ds_load_b64 v[36:37], v32
	ds_load_b64 v[38:39], v30
	ds_load_2addr_b64 v[4:7], v27 offset0:56 offset1:68
	ds_load_2addr_b64 v[8:11], v27 offset0:80 offset1:92
.LBB0_6:
	s_wait_alu 0xfffe
	s_or_b32 exec_lo, exec_lo, s3
	v_mul_u32_u24_e32 v34, 7, v24
	v_cmp_gt_u32_e64 s3, 12, v26
	s_delay_alu instid0(VALU_DEP_2)
	v_lshlrev_b32_e32 v34, 3, v34
	s_clause 0x3
	global_load_b128 v[46:49], v34, s[6:7] offset:80
	global_load_b128 v[50:53], v34, s[6:7] offset:96
	;; [unrolled: 1-line block ×3, first 2 shown]
	global_load_b64 v[58:59], v34, s[6:7] offset:128
	global_wb scope:SCOPE_SE
	s_wait_loadcnt_dscnt 0x0
	s_barrier_signal -1
	s_barrier_wait -1
	global_inv scope:SCOPE_SE
	v_mul_f32_e32 v34, v47, v13
	v_dual_mul_f32 v61, v51, v15 :: v_dual_mul_f32 v62, v53, v21
	v_dual_mul_f32 v47, v47, v12 :: v_dual_mul_f32 v60, v49, v43
	v_mul_f32_e32 v51, v51, v14
	v_mul_f32_e32 v49, v49, v42
	;; [unrolled: 1-line block ×3, first 2 shown]
	v_dual_mul_f32 v63, v55, v23 :: v_dual_mul_f32 v64, v57, v17
	v_dual_mul_f32 v55, v55, v22 :: v_dual_fmac_f32 v34, v46, v12
	v_dual_mul_f32 v65, v59, v19 :: v_dual_fmac_f32 v62, v52, v20
	v_mul_f32_e32 v57, v57, v16
	s_delay_alu instid0(VALU_DEP_4)
	v_dual_mul_f32 v59, v59, v18 :: v_dual_fmac_f32 v64, v56, v16
	v_fma_f32 v12, v46, v13, -v47
	v_fmac_f32_e32 v60, v48, v42
	v_fma_f32 v13, v48, v43, -v49
	v_fma_f32 v20, v54, v23, -v55
	v_fmac_f32_e32 v65, v58, v18
	v_sub_f32_e32 v18, v40, v62
	v_fma_f32 v16, v56, v17, -v57
	v_fmac_f32_e32 v61, v50, v14
	v_fma_f32 v14, v50, v15, -v51
	v_fma_f32 v15, v52, v21, -v53
	v_dual_fmac_f32 v63, v54, v22 :: v_dual_sub_f32 v20, v12, v20
	v_fma_f32 v17, v58, v19, -v59
	v_sub_f32_e32 v16, v13, v16
	s_delay_alu instid0(VALU_DEP_4) | instskip(SKIP_4) | instid1(VALU_DEP_4)
	v_sub_f32_e32 v15, v41, v15
	v_sub_f32_e32 v19, v60, v64
	v_fma_f32 v42, v12, 2.0, -v20
	v_fma_f32 v23, v40, 2.0, -v18
	;; [unrolled: 1-line block ×3, first 2 shown]
	v_sub_f32_e32 v46, v15, v19
	v_sub_f32_e32 v22, v61, v65
	s_delay_alu instid0(VALU_DEP_1)
	v_fma_f32 v12, v61, 2.0, -v22
	v_dual_sub_f32 v22, v20, v22 :: v_dual_add_f32 v43, v18, v16
	v_sub_f32_e32 v21, v34, v63
	v_fma_f32 v40, v41, 2.0, -v15
	v_fma_f32 v41, v60, 2.0, -v19
	;; [unrolled: 1-line block ×4, first 2 shown]
	v_sub_f32_e32 v17, v14, v17
	v_fma_f32 v34, v34, 2.0, -v21
	v_fma_f32 v20, v20, 2.0, -v22
	s_delay_alu instid0(VALU_DEP_3) | instskip(SKIP_1) | instid1(VALU_DEP_4)
	v_fma_f32 v14, v14, 2.0, -v17
	v_add_f32_e32 v19, v21, v17
	v_sub_f32_e32 v17, v34, v12
	s_delay_alu instid0(VALU_DEP_3) | instskip(NEXT) | instid1(VALU_DEP_3)
	v_dual_fmamk_f32 v15, v20, 0xbf3504f3, v49 :: v_dual_sub_f32 v16, v42, v14
	v_fmamk_f32 v12, v19, 0x3f3504f3, v43
	s_delay_alu instid0(VALU_DEP_3) | instskip(SKIP_2) | instid1(VALU_DEP_4)
	v_fma_f32 v18, v34, 2.0, -v17
	v_sub_f32_e32 v41, v23, v41
	v_fma_f32 v21, v21, 2.0, -v19
	v_fmac_f32_e32 v12, 0x3f3504f3, v22
	s_delay_alu instid0(VALU_DEP_3) | instskip(SKIP_1) | instid1(VALU_DEP_4)
	v_fma_f32 v50, v23, 2.0, -v41
	v_fma_f32 v23, v42, 2.0, -v16
	v_dual_fmamk_f32 v14, v21, 0xbf3504f3, v48 :: v_dual_fmac_f32 v15, 0xbf3504f3, v21
	s_delay_alu instid0(VALU_DEP_3) | instskip(SKIP_1) | instid1(VALU_DEP_3)
	v_dual_sub_f32 v18, v50, v18 :: v_dual_sub_f32 v47, v40, v13
	v_dual_add_f32 v16, v41, v16 :: v_dual_fmamk_f32 v13, v22, 0x3f3504f3, v46
	v_fmac_f32_e32 v14, 0x3f3504f3, v20
	v_fma_f32 v22, v43, 2.0, -v12
	s_delay_alu instid0(VALU_DEP_4)
	v_fma_f32 v51, v40, 2.0, -v47
	v_sub_f32_e32 v17, v47, v17
	v_fmac_f32_e32 v13, 0xbf3504f3, v19
	v_fma_f32 v20, v41, 2.0, -v16
	v_fma_f32 v40, v50, 2.0, -v18
	v_sub_f32_e32 v19, v51, v23
	v_fma_f32 v21, v47, 2.0, -v17
	v_fma_f32 v23, v46, 2.0, -v13
	;; [unrolled: 1-line block ×5, first 2 shown]
	ds_store_2addr_b64 v27, v[20:21], v[22:23] offset0:24 offset1:36
	ds_store_2addr_b64 v27, v[18:19], v[14:15] offset0:48 offset1:60
	ds_store_2addr_b64 v27, v[40:41], v[42:43] offset1:12
	ds_store_2addr_b64 v27, v[16:17], v[12:13] offset0:72 offset1:84
	s_and_saveexec_b32 s8, s2
	s_cbranch_execz .LBB0_8
; %bb.7:
	v_dual_mov_b32 v13, 0 :: v_dual_add_nc_u32 v12, -4, v24
	s_delay_alu instid0(VALU_DEP_1) | instskip(NEXT) | instid1(VALU_DEP_1)
	v_cndmask_b32_e64 v12, v12, v26, s3
	v_mul_i32_i24_e32 v12, 7, v12
	s_delay_alu instid0(VALU_DEP_1) | instskip(NEXT) | instid1(VALU_DEP_1)
	v_lshlrev_b64_e32 v[12:13], 3, v[12:13]
	v_add_co_u32 v40, s2, s6, v12
	s_wait_alu 0xf1ff
	s_delay_alu instid0(VALU_DEP_2)
	v_add_co_ci_u32_e64 v41, s2, s7, v13, s2
	s_clause 0x3
	global_load_b128 v[12:15], v[40:41], off offset:96
	global_load_b128 v[16:19], v[40:41], off offset:80
	;; [unrolled: 1-line block ×3, first 2 shown]
	global_load_b64 v[40:41], v[40:41], off offset:128
	s_wait_loadcnt 0x3
	v_mul_f32_e32 v48, v3, v13
	s_wait_loadcnt 0x2
	v_dual_mul_f32 v42, v39, v19 :: v_dual_mul_f32 v13, v2, v13
	s_wait_loadcnt 0x0
	v_dual_mul_f32 v49, v11, v41 :: v_dual_mul_f32 v34, v4, v15
	v_mul_f32_e32 v47, v6, v21
	v_dual_mul_f32 v43, v9, v23 :: v_dual_mul_f32 v46, v0, v17
	v_mul_f32_e32 v19, v38, v19
	v_dual_mul_f32 v17, v1, v17 :: v_dual_fmac_f32 v48, v2, v12
	v_fmac_f32_e32 v42, v38, v18
	v_fmac_f32_e32 v49, v10, v40
	v_mul_f32_e32 v15, v5, v15
	v_fma_f32 v5, v5, v14, -v34
	v_mul_f32_e32 v23, v8, v23
	v_fmac_f32_e32 v43, v8, v22
	v_sub_f32_e32 v8, v48, v49
	v_fmac_f32_e32 v15, v4, v14
	v_mul_f32_e32 v21, v7, v21
	v_fmac_f32_e32 v17, v0, v16
	v_fma_f32 v0, v39, v18, -v19
	v_sub_f32_e32 v4, v37, v5
	v_fma_f32 v1, v1, v16, -v46
	v_fmac_f32_e32 v21, v6, v20
	v_fma_f32 v6, v9, v22, -v23
	v_mul_f32_e32 v41, v10, v41
	v_fma_f32 v7, v7, v20, -v47
	v_sub_f32_e32 v10, v36, v15
	v_fma_f32 v14, v37, 2.0, -v4
	v_sub_f32_e32 v6, v0, v6
	v_fma_f32 v2, v3, v12, -v13
	v_fma_f32 v3, v11, v40, -v41
	s_delay_alu instid0(VALU_DEP_3) | instskip(SKIP_1) | instid1(VALU_DEP_1)
	v_add_f32_e32 v16, v10, v6
	v_fma_f32 v6, v0, 2.0, -v6
	v_dual_sub_f32 v7, v1, v7 :: v_dual_sub_f32 v6, v14, v6
	s_delay_alu instid0(VALU_DEP_1) | instskip(SKIP_2) | instid1(VALU_DEP_2)
	v_fma_f32 v18, v1, 2.0, -v7
	v_dual_sub_f32 v9, v17, v21 :: v_dual_sub_f32 v12, v7, v8
	v_fma_f32 v8, v48, 2.0, -v8
	v_fma_f32 v15, v17, 2.0, -v9
	v_sub_f32_e32 v5, v42, v43
	v_fma_f32 v17, v36, 2.0, -v10
	v_fma_f32 v22, v7, 2.0, -v12
	;; [unrolled: 1-line block ×3, first 2 shown]
	s_delay_alu instid0(VALU_DEP_4) | instskip(SKIP_1) | instid1(VALU_DEP_2)
	v_dual_sub_f32 v8, v15, v8 :: v_dual_sub_f32 v11, v4, v5
	v_fma_f32 v5, v42, 2.0, -v5
	v_fmamk_f32 v1, v12, 0x3f3504f3, v11
	s_delay_alu instid0(VALU_DEP_2) | instskip(SKIP_1) | instid1(VALU_DEP_1)
	v_sub_f32_e32 v19, v17, v5
	v_sub_f32_e32 v3, v2, v3
	v_fma_f32 v2, v2, 2.0, -v3
	s_delay_alu instid0(VALU_DEP_1) | instskip(NEXT) | instid1(VALU_DEP_1)
	v_sub_f32_e32 v20, v18, v2
	v_dual_add_f32 v2, v19, v20 :: v_dual_add_f32 v13, v9, v3
	v_sub_f32_e32 v3, v6, v8
	v_fma_f32 v8, v15, 2.0, -v8
	s_delay_alu instid0(VALU_DEP_3) | instskip(SKIP_1) | instid1(VALU_DEP_2)
	v_fmamk_f32 v0, v13, 0x3f3504f3, v16
	v_fma_f32 v9, v9, 2.0, -v13
	v_fmac_f32_e32 v0, 0x3f3504f3, v12
	v_fma_f32 v12, v14, 2.0, -v6
	v_fma_f32 v14, v17, 2.0, -v19
	s_delay_alu instid0(VALU_DEP_1) | instskip(SKIP_2) | instid1(VALU_DEP_3)
	v_sub_f32_e32 v8, v14, v8
	v_fma_f32 v21, v4, 2.0, -v11
	v_fmamk_f32 v4, v9, 0xbf3504f3, v10
	v_fma_f32 v14, v14, 2.0, -v8
	s_delay_alu instid0(VALU_DEP_3) | instskip(NEXT) | instid1(VALU_DEP_3)
	v_fmamk_f32 v5, v22, 0xbf3504f3, v21
	v_fmac_f32_e32 v4, 0x3f3504f3, v22
	v_fmac_f32_e32 v1, 0xbf3504f3, v13
	v_fma_f32 v13, v18, 2.0, -v20
	s_delay_alu instid0(VALU_DEP_4) | instskip(NEXT) | instid1(VALU_DEP_3)
	v_fmac_f32_e32 v5, 0xbf3504f3, v9
	v_fma_f32 v7, v11, 2.0, -v1
	s_delay_alu instid0(VALU_DEP_3) | instskip(SKIP_1) | instid1(VALU_DEP_4)
	v_sub_f32_e32 v9, v12, v13
	v_fma_f32 v11, v6, 2.0, -v3
	v_fma_f32 v13, v21, 2.0, -v5
	;; [unrolled: 1-line block ×3, first 2 shown]
	s_delay_alu instid0(VALU_DEP_4)
	v_fma_f32 v15, v12, 2.0, -v9
	v_fma_f32 v12, v10, 2.0, -v4
	;; [unrolled: 1-line block ×3, first 2 shown]
	ds_store_b64 v32, v[14:15]
	ds_store_b64 v27, v[12:13] offset:160
	ds_store_b64 v30, v[10:11]
	ds_store_2addr_b64 v27, v[6:7], v[8:9] offset0:44 offset1:56
	ds_store_2addr_b64 v27, v[4:5], v[2:3] offset0:68 offset1:80
	ds_store_b64 v27, v[0:1] offset:736
.LBB0_8:
	s_wait_alu 0xfffe
	s_or_b32 exec_lo, exec_lo, s8
	global_wb scope:SCOPE_SE
	s_wait_dscnt 0x0
	s_barrier_signal -1
	s_barrier_wait -1
	global_inv scope:SCOPE_SE
	ds_load_b64 v[2:3], v45
	v_sub_nc_u32_e32 v4, v44, v25
	s_mov_b32 s3, exec_lo
                                        ; implicit-def: $vgpr0
                                        ; implicit-def: $vgpr5
                                        ; implicit-def: $vgpr6
	v_cmpx_ne_u32_e32 0, v24
	s_wait_alu 0xfffe
	s_xor_b32 s3, exec_lo, s3
	s_cbranch_execz .LBB0_10
; %bb.9:
	v_mov_b32_e32 v25, 0
	s_delay_alu instid0(VALU_DEP_1) | instskip(NEXT) | instid1(VALU_DEP_1)
	v_lshlrev_b64_e32 v[0:1], 3, v[24:25]
	v_add_co_u32 v0, s2, s6, v0
	s_wait_alu 0xf1ff
	s_delay_alu instid0(VALU_DEP_2)
	v_add_co_ci_u32_e64 v1, s2, s7, v1, s2
	global_load_b64 v[7:8], v[0:1], off offset:752
	ds_load_b64 v[0:1], v4 offset:768
	s_wait_dscnt 0x0
	v_dual_add_f32 v6, v1, v3 :: v_dual_sub_f32 v5, v2, v0
	v_dual_add_f32 v0, v0, v2 :: v_dual_sub_f32 v1, v3, v1
	s_delay_alu instid0(VALU_DEP_2) | instskip(SKIP_1) | instid1(VALU_DEP_1)
	v_dual_mul_f32 v2, 0.5, v6 :: v_dual_mul_f32 v3, 0.5, v5
	s_wait_loadcnt 0x0
	v_dual_mul_f32 v1, 0.5, v1 :: v_dual_mul_f32 v6, v8, v3
	s_delay_alu instid0(VALU_DEP_1) | instskip(SKIP_1) | instid1(VALU_DEP_3)
	v_fma_f32 v9, v2, v8, v1
	v_fma_f32 v1, v2, v8, -v1
	v_fma_f32 v5, 0.5, v0, v6
	v_fma_f32 v0, v0, 0.5, -v6
	s_delay_alu instid0(VALU_DEP_4) | instskip(NEXT) | instid1(VALU_DEP_4)
	v_fma_f32 v6, -v7, v3, v9
	v_fma_f32 v1, -v7, v3, v1
	s_delay_alu instid0(VALU_DEP_4) | instskip(NEXT) | instid1(VALU_DEP_4)
	v_fmac_f32_e32 v5, v7, v2
	v_fma_f32 v0, -v7, v2, v0
                                        ; implicit-def: $vgpr2_vgpr3
.LBB0_10:
	s_wait_alu 0xfffe
	s_and_not1_saveexec_b32 s2, s3
	s_cbranch_execz .LBB0_12
; %bb.11:
	ds_load_b32 v1, v44 offset:388
	s_wait_dscnt 0x1
	v_dual_add_f32 v5, v2, v3 :: v_dual_mov_b32 v6, 0
	v_sub_f32_e32 v0, v2, v3
	s_wait_dscnt 0x0
	v_xor_b32_e32 v2, 0x80000000, v1
	v_mov_b32_e32 v1, 0
	ds_store_b32 v44, v2 offset:388
.LBB0_12:
	s_wait_alu 0xfffe
	s_or_b32 exec_lo, exec_lo, s2
	v_mov_b32_e32 v27, 0
	v_lshl_add_u32 v15, v26, 3, v44
	s_wait_dscnt 0x0
	s_delay_alu instid0(VALU_DEP_2) | instskip(SKIP_3) | instid1(VALU_DEP_3)
	v_lshlrev_b64_e32 v[2:3], 3, v[26:27]
	v_mov_b32_e32 v36, v27
	v_mov_b32_e32 v34, v27
	;; [unrolled: 1-line block ×3, first 2 shown]
	v_lshlrev_b64_e32 v[7:8], 3, v[35:36]
	v_add_co_u32 v2, s2, s6, v2
	s_wait_alu 0xf1ff
	v_add_co_ci_u32_e64 v3, s2, s7, v3, s2
	v_lshlrev_b64_e32 v[9:10], 3, v[33:34]
	s_delay_alu instid0(VALU_DEP_4)
	v_add_co_u32 v7, s2, s6, v7
	global_load_b64 v[2:3], v[2:3], off offset:752
	s_wait_alu 0xf1ff
	v_add_co_ci_u32_e64 v8, s2, s7, v8, s2
	v_add_co_u32 v9, s2, s6, v9
	s_wait_alu 0xf1ff
	v_add_co_ci_u32_e64 v10, s2, s7, v10, s2
	global_load_b64 v[7:8], v[7:8], off offset:752
	v_lshlrev_b64_e32 v[11:12], 3, v[31:32]
	global_load_b64 v[9:10], v[9:10], off offset:752
	v_add_co_u32 v11, s2, s6, v11
	s_wait_alu 0xf1ff
	v_add_co_ci_u32_e64 v12, s2, s7, v12, s2
	global_load_b64 v[11:12], v[11:12], off offset:752
	v_mov_b32_e32 v30, v27
	s_delay_alu instid0(VALU_DEP_1) | instskip(NEXT) | instid1(VALU_DEP_1)
	v_lshlrev_b64_e32 v[13:14], 3, v[29:30]
	v_add_co_u32 v13, s2, s6, v13
	s_wait_alu 0xf1ff
	s_delay_alu instid0(VALU_DEP_2)
	v_add_co_ci_u32_e64 v14, s2, s7, v14, s2
	global_load_b64 v[13:14], v[13:14], off offset:752
	ds_store_2addr_b32 v45, v5, v6 offset1:1
	ds_store_b64 v4, v[0:1] offset:768
	ds_load_b64 v[0:1], v15
	ds_load_b64 v[5:6], v4 offset:704
	s_wait_dscnt 0x0
	v_dual_sub_f32 v16, v0, v5 :: v_dual_add_f32 v17, v1, v6
	v_dual_sub_f32 v1, v1, v6 :: v_dual_add_f32 v0, v0, v5
	s_delay_alu instid0(VALU_DEP_2) | instskip(NEXT) | instid1(VALU_DEP_3)
	v_mul_f32_e32 v6, 0.5, v16
	v_mul_f32_e32 v16, 0.5, v17
	s_delay_alu instid0(VALU_DEP_3) | instskip(SKIP_1) | instid1(VALU_DEP_3)
	v_mul_f32_e32 v1, 0.5, v1
	s_wait_loadcnt 0x4
	v_mul_f32_e32 v5, v3, v6
	s_delay_alu instid0(VALU_DEP_2) | instskip(SKIP_1) | instid1(VALU_DEP_3)
	v_fma_f32 v17, v16, v3, v1
	v_fma_f32 v1, v16, v3, -v1
	v_fma_f32 v3, 0.5, v0, v5
	v_fma_f32 v0, v0, 0.5, -v5
	s_delay_alu instid0(VALU_DEP_4) | instskip(NEXT) | instid1(VALU_DEP_4)
	v_fma_f32 v5, -v2, v6, v17
	v_fma_f32 v1, -v2, v6, v1
	v_lshl_add_u32 v6, v35, 3, v44
	v_fmac_f32_e32 v3, v2, v16
	v_fma_f32 v0, -v2, v16, v0
	ds_store_2addr_b32 v15, v3, v5 offset1:1
	ds_store_b64 v4, v[0:1] offset:704
	ds_load_b64 v[0:1], v6
	ds_load_b64 v[2:3], v4 offset:640
	s_wait_dscnt 0x0
	v_sub_f32_e32 v5, v0, v2
	v_add_f32_e32 v15, v1, v3
	v_dual_sub_f32 v1, v1, v3 :: v_dual_add_f32 v0, v0, v2
	s_delay_alu instid0(VALU_DEP_3) | instskip(NEXT) | instid1(VALU_DEP_3)
	v_mul_f32_e32 v3, 0.5, v5
	v_mul_f32_e32 v5, 0.5, v15
	s_wait_loadcnt 0x3
	s_delay_alu instid0(VALU_DEP_2) | instskip(NEXT) | instid1(VALU_DEP_1)
	v_dual_mul_f32 v1, 0.5, v1 :: v_dual_mul_f32 v2, v8, v3
	v_fma_f32 v15, v5, v8, v1
	v_fma_f32 v1, v5, v8, -v1
	s_delay_alu instid0(VALU_DEP_3) | instskip(SKIP_1) | instid1(VALU_DEP_4)
	v_fma_f32 v8, 0.5, v0, v2
	v_fma_f32 v0, v0, 0.5, -v2
	v_fma_f32 v2, -v7, v3, v15
	s_delay_alu instid0(VALU_DEP_4) | instskip(NEXT) | instid1(VALU_DEP_4)
	v_fma_f32 v1, -v7, v3, v1
	v_fmac_f32_e32 v8, v7, v5
	s_delay_alu instid0(VALU_DEP_4)
	v_fma_f32 v0, -v7, v5, v0
	v_lshl_add_u32 v5, v33, 3, v44
	ds_store_2addr_b32 v6, v8, v2 offset1:1
	ds_store_b64 v4, v[0:1] offset:640
	ds_load_b64 v[0:1], v5
	ds_load_b64 v[2:3], v4 offset:576
	s_wait_dscnt 0x0
	v_dual_add_f32 v7, v1, v3 :: v_dual_sub_f32 v6, v0, v2
	v_dual_sub_f32 v1, v1, v3 :: v_dual_add_f32 v0, v0, v2
	s_delay_alu instid0(VALU_DEP_2) | instskip(SKIP_1) | instid1(VALU_DEP_1)
	v_dual_mul_f32 v3, 0.5, v6 :: v_dual_mul_f32 v6, 0.5, v7
	s_wait_loadcnt 0x2
	v_dual_mul_f32 v1, 0.5, v1 :: v_dual_mul_f32 v2, v10, v3
	s_delay_alu instid0(VALU_DEP_1) | instskip(SKIP_1) | instid1(VALU_DEP_3)
	v_fma_f32 v7, v6, v10, v1
	v_fma_f32 v1, v6, v10, -v1
	v_fma_f32 v8, 0.5, v0, v2
	v_fma_f32 v0, v0, 0.5, -v2
	s_delay_alu instid0(VALU_DEP_4) | instskip(NEXT) | instid1(VALU_DEP_4)
	v_fma_f32 v2, -v9, v3, v7
	v_fma_f32 v1, -v9, v3, v1
	s_delay_alu instid0(VALU_DEP_4) | instskip(NEXT) | instid1(VALU_DEP_4)
	v_fmac_f32_e32 v8, v9, v6
	v_fma_f32 v0, -v9, v6, v0
	v_lshl_add_u32 v6, v31, 3, v44
	ds_store_2addr_b32 v5, v8, v2 offset1:1
	ds_store_b64 v4, v[0:1] offset:576
	ds_load_b64 v[0:1], v6
	ds_load_b64 v[2:3], v4 offset:512
	s_wait_dscnt 0x0
	v_sub_f32_e32 v5, v0, v2
	v_add_f32_e32 v7, v1, v3
	v_dual_sub_f32 v1, v1, v3 :: v_dual_add_f32 v0, v0, v2
	s_delay_alu instid0(VALU_DEP_3) | instskip(NEXT) | instid1(VALU_DEP_3)
	v_mul_f32_e32 v3, 0.5, v5
	v_mul_f32_e32 v5, 0.5, v7
	s_wait_loadcnt 0x1
	s_delay_alu instid0(VALU_DEP_2) | instskip(NEXT) | instid1(VALU_DEP_1)
	v_dual_mul_f32 v1, 0.5, v1 :: v_dual_mul_f32 v2, v12, v3
	v_fma_f32 v7, v5, v12, v1
	v_fma_f32 v1, v5, v12, -v1
	s_delay_alu instid0(VALU_DEP_3) | instskip(SKIP_1) | instid1(VALU_DEP_4)
	v_fma_f32 v8, 0.5, v0, v2
	v_fma_f32 v0, v0, 0.5, -v2
	v_fma_f32 v2, -v11, v3, v7
	s_delay_alu instid0(VALU_DEP_4) | instskip(NEXT) | instid1(VALU_DEP_4)
	v_fma_f32 v1, -v11, v3, v1
	v_fmac_f32_e32 v8, v11, v5
	s_delay_alu instid0(VALU_DEP_4)
	v_fma_f32 v0, -v11, v5, v0
	v_lshl_add_u32 v5, v29, 3, v44
	ds_store_2addr_b32 v6, v8, v2 offset1:1
	ds_store_b64 v4, v[0:1] offset:512
	ds_load_b64 v[0:1], v5
	ds_load_b64 v[2:3], v4 offset:448
	s_wait_dscnt 0x0
	v_dual_sub_f32 v6, v0, v2 :: v_dual_add_f32 v7, v1, v3
	v_dual_sub_f32 v1, v1, v3 :: v_dual_add_f32 v0, v0, v2
	s_delay_alu instid0(VALU_DEP_2) | instskip(SKIP_1) | instid1(VALU_DEP_1)
	v_dual_mul_f32 v3, 0.5, v6 :: v_dual_mul_f32 v6, 0.5, v7
	s_wait_loadcnt 0x0
	v_dual_mul_f32 v1, 0.5, v1 :: v_dual_mul_f32 v2, v14, v3
	s_delay_alu instid0(VALU_DEP_1) | instskip(SKIP_1) | instid1(VALU_DEP_3)
	v_fma_f32 v7, v6, v14, v1
	v_fma_f32 v1, v6, v14, -v1
	v_fma_f32 v8, 0.5, v0, v2
	v_fma_f32 v0, v0, 0.5, -v2
	s_delay_alu instid0(VALU_DEP_4) | instskip(NEXT) | instid1(VALU_DEP_4)
	v_fma_f32 v2, -v13, v3, v7
	v_fma_f32 v1, -v13, v3, v1
	s_delay_alu instid0(VALU_DEP_4) | instskip(NEXT) | instid1(VALU_DEP_4)
	v_fmac_f32_e32 v8, v13, v6
	v_fma_f32 v0, -v13, v6, v0
	ds_store_2addr_b32 v5, v8, v2 offset1:1
	ds_store_b64 v4, v[0:1] offset:448
	global_wb scope:SCOPE_SE
	s_wait_dscnt 0x0
	s_barrier_signal -1
	s_barrier_wait -1
	global_inv scope:SCOPE_SE
	s_and_saveexec_b32 s2, vcc_lo
	s_cbranch_execz .LBB0_15
; %bb.13:
	v_mad_co_u64_u32 v[0:1], null, s4, v28, 0
	s_load_b64 s[0:1], s[0:1], 0x58
	v_dual_mov_b32 v25, v27 :: v_dual_add_nc_u32 v26, 8, v24
	s_delay_alu instid0(VALU_DEP_1) | instskip(NEXT) | instid1(VALU_DEP_3)
	v_lshlrev_b64_e32 v[11:12], 3, v[26:27]
	v_mad_co_u64_u32 v[1:2], null, s5, v28, v[1:2]
	v_lshl_add_u32 v2, v24, 3, v44
	v_add_nc_u32_e32 v26, 16, v24
	v_lshlrev_b64_e32 v[15:16], 3, v[24:25]
	ds_load_2addr_b64 v[3:6], v2 offset1:8
	v_lshlrev_b64_e32 v[0:1], 3, v[0:1]
	ds_load_2addr_b64 v[7:10], v2 offset0:16 offset1:24
	v_lshlrev_b64_e32 v[13:14], 3, v[26:27]
	v_add_nc_u32_e32 v26, 24, v24
	s_wait_kmcnt 0x0
	v_add_co_u32 v0, vcc_lo, s0, v0
	v_add_co_ci_u32_e32 v1, vcc_lo, s1, v1, vcc_lo
	s_delay_alu instid0(VALU_DEP_3) | instskip(NEXT) | instid1(VALU_DEP_3)
	v_lshlrev_b64_e32 v[17:18], 3, v[26:27]
	v_add_co_u32 v15, vcc_lo, v0, v15
	s_wait_alu 0xfffd
	s_delay_alu instid0(VALU_DEP_3)
	v_add_co_ci_u32_e32 v16, vcc_lo, v1, v16, vcc_lo
	v_add_co_u32 v11, vcc_lo, v0, v11
	v_add_nc_u32_e32 v26, 32, v24
	s_wait_alu 0xfffd
	v_add_co_ci_u32_e32 v12, vcc_lo, v1, v12, vcc_lo
	v_add_co_u32 v13, vcc_lo, v0, v13
	s_wait_alu 0xfffd
	v_add_co_ci_u32_e32 v14, vcc_lo, v1, v14, vcc_lo
	v_lshlrev_b64_e32 v[19:20], 3, v[26:27]
	v_add_co_u32 v17, vcc_lo, v0, v17
	v_add_nc_u32_e32 v26, 40, v24
	s_wait_alu 0xfffd
	v_add_co_ci_u32_e32 v18, vcc_lo, v1, v18, vcc_lo
	s_wait_dscnt 0x1
	s_clause 0x1
	global_store_b64 v[15:16], v[3:4], off
	global_store_b64 v[11:12], v[5:6], off
	s_wait_dscnt 0x0
	s_clause 0x1
	global_store_b64 v[13:14], v[7:8], off
	global_store_b64 v[17:18], v[9:10], off
	ds_load_2addr_b64 v[3:6], v2 offset0:32 offset1:40
	v_lshlrev_b64_e32 v[11:12], 3, v[26:27]
	v_add_nc_u32_e32 v26, 48, v24
	ds_load_2addr_b64 v[7:10], v2 offset0:48 offset1:56
	v_add_co_u32 v13, vcc_lo, v0, v19
	s_wait_alu 0xfffd
	v_add_co_ci_u32_e32 v14, vcc_lo, v1, v20, vcc_lo
	v_lshlrev_b64_e32 v[15:16], 3, v[26:27]
	v_add_nc_u32_e32 v26, 56, v24
	v_add_co_u32 v11, vcc_lo, v0, v11
	s_wait_alu 0xfffd
	v_add_co_ci_u32_e32 v12, vcc_lo, v1, v12, vcc_lo
	s_delay_alu instid0(VALU_DEP_3) | instskip(SKIP_4) | instid1(VALU_DEP_3)
	v_lshlrev_b64_e32 v[17:18], 3, v[26:27]
	v_add_nc_u32_e32 v26, 64, v24
	v_add_co_u32 v15, vcc_lo, v0, v15
	s_wait_alu 0xfffd
	v_add_co_ci_u32_e32 v16, vcc_lo, v1, v16, vcc_lo
	v_lshlrev_b64_e32 v[19:20], 3, v[26:27]
	v_add_nc_u32_e32 v26, 0x48, v24
	v_add_co_u32 v17, vcc_lo, v0, v17
	s_wait_alu 0xfffd
	v_add_co_ci_u32_e32 v18, vcc_lo, v1, v18, vcc_lo
	s_wait_dscnt 0x1
	s_clause 0x1
	global_store_b64 v[13:14], v[3:4], off
	global_store_b64 v[11:12], v[5:6], off
	s_wait_dscnt 0x0
	s_clause 0x1
	global_store_b64 v[15:16], v[7:8], off
	global_store_b64 v[17:18], v[9:10], off
	v_lshlrev_b64_e32 v[11:12], 3, v[26:27]
	v_add_nc_u32_e32 v26, 0x50, v24
	ds_load_2addr_b64 v[3:6], v2 offset0:64 offset1:72
	ds_load_2addr_b64 v[7:10], v2 offset0:80 offset1:88
	v_add_co_u32 v13, vcc_lo, v0, v19
	v_lshlrev_b64_e32 v[15:16], 3, v[26:27]
	v_add_nc_u32_e32 v26, 0x58, v24
	s_wait_alu 0xfffd
	v_add_co_ci_u32_e32 v14, vcc_lo, v1, v20, vcc_lo
	v_add_co_u32 v11, vcc_lo, v0, v11
	s_delay_alu instid0(VALU_DEP_3)
	v_lshlrev_b64_e32 v[17:18], 3, v[26:27]
	s_wait_alu 0xfffd
	v_add_co_ci_u32_e32 v12, vcc_lo, v1, v12, vcc_lo
	v_add_co_u32 v15, vcc_lo, v0, v15
	s_wait_alu 0xfffd
	v_add_co_ci_u32_e32 v16, vcc_lo, v1, v16, vcc_lo
	v_add_co_u32 v17, vcc_lo, v0, v17
	s_wait_alu 0xfffd
	v_add_co_ci_u32_e32 v18, vcc_lo, v1, v18, vcc_lo
	v_cmp_eq_u32_e32 vcc_lo, 7, v24
	s_wait_dscnt 0x1
	s_clause 0x1
	global_store_b64 v[13:14], v[3:4], off
	global_store_b64 v[11:12], v[5:6], off
	s_wait_dscnt 0x0
	s_clause 0x1
	global_store_b64 v[15:16], v[7:8], off
	global_store_b64 v[17:18], v[9:10], off
	s_and_b32 exec_lo, exec_lo, vcc_lo
	s_cbranch_execz .LBB0_15
; %bb.14:
	ds_load_b64 v[2:3], v2 offset:712
	s_wait_dscnt 0x0
	global_store_b64 v[0:1], v[2:3], off offset:768
.LBB0_15:
	s_nop 0
	s_sendmsg sendmsg(MSG_DEALLOC_VGPRS)
	s_endpgm
	.section	.rodata,"a",@progbits
	.p2align	6, 0x0
	.amdhsa_kernel fft_rtc_back_len96_factors_2_2_3_8_wgs_64_tpt_8_dim1_sp_op_CI_CI_unitstride_sbrr_R2C_dirReg
		.amdhsa_group_segment_fixed_size 0
		.amdhsa_private_segment_fixed_size 0
		.amdhsa_kernarg_size 96
		.amdhsa_user_sgpr_count 2
		.amdhsa_user_sgpr_dispatch_ptr 0
		.amdhsa_user_sgpr_queue_ptr 0
		.amdhsa_user_sgpr_kernarg_segment_ptr 1
		.amdhsa_user_sgpr_dispatch_id 0
		.amdhsa_user_sgpr_private_segment_size 0
		.amdhsa_wavefront_size32 1
		.amdhsa_uses_dynamic_stack 0
		.amdhsa_enable_private_segment 0
		.amdhsa_system_sgpr_workgroup_id_x 1
		.amdhsa_system_sgpr_workgroup_id_y 0
		.amdhsa_system_sgpr_workgroup_id_z 0
		.amdhsa_system_sgpr_workgroup_info 0
		.amdhsa_system_vgpr_workitem_id 0
		.amdhsa_next_free_vgpr 66
		.amdhsa_next_free_sgpr 12
		.amdhsa_reserve_vcc 1
		.amdhsa_float_round_mode_32 0
		.amdhsa_float_round_mode_16_64 0
		.amdhsa_float_denorm_mode_32 3
		.amdhsa_float_denorm_mode_16_64 3
		.amdhsa_fp16_overflow 0
		.amdhsa_workgroup_processor_mode 1
		.amdhsa_memory_ordered 1
		.amdhsa_forward_progress 0
		.amdhsa_round_robin_scheduling 0
		.amdhsa_exception_fp_ieee_invalid_op 0
		.amdhsa_exception_fp_denorm_src 0
		.amdhsa_exception_fp_ieee_div_zero 0
		.amdhsa_exception_fp_ieee_overflow 0
		.amdhsa_exception_fp_ieee_underflow 0
		.amdhsa_exception_fp_ieee_inexact 0
		.amdhsa_exception_int_div_zero 0
	.end_amdhsa_kernel
	.text
.Lfunc_end0:
	.size	fft_rtc_back_len96_factors_2_2_3_8_wgs_64_tpt_8_dim1_sp_op_CI_CI_unitstride_sbrr_R2C_dirReg, .Lfunc_end0-fft_rtc_back_len96_factors_2_2_3_8_wgs_64_tpt_8_dim1_sp_op_CI_CI_unitstride_sbrr_R2C_dirReg
                                        ; -- End function
	.section	.AMDGPU.csdata,"",@progbits
; Kernel info:
; codeLenInByte = 5868
; NumSgprs: 14
; NumVgprs: 66
; ScratchSize: 0
; MemoryBound: 0
; FloatMode: 240
; IeeeMode: 1
; LDSByteSize: 0 bytes/workgroup (compile time only)
; SGPRBlocks: 1
; VGPRBlocks: 8
; NumSGPRsForWavesPerEU: 14
; NumVGPRsForWavesPerEU: 66
; Occupancy: 16
; WaveLimiterHint : 1
; COMPUTE_PGM_RSRC2:SCRATCH_EN: 0
; COMPUTE_PGM_RSRC2:USER_SGPR: 2
; COMPUTE_PGM_RSRC2:TRAP_HANDLER: 0
; COMPUTE_PGM_RSRC2:TGID_X_EN: 1
; COMPUTE_PGM_RSRC2:TGID_Y_EN: 0
; COMPUTE_PGM_RSRC2:TGID_Z_EN: 0
; COMPUTE_PGM_RSRC2:TIDIG_COMP_CNT: 0
	.text
	.p2alignl 7, 3214868480
	.fill 96, 4, 3214868480
	.type	__hip_cuid_dd66b816f30fbe93,@object ; @__hip_cuid_dd66b816f30fbe93
	.section	.bss,"aw",@nobits
	.globl	__hip_cuid_dd66b816f30fbe93
__hip_cuid_dd66b816f30fbe93:
	.byte	0                               ; 0x0
	.size	__hip_cuid_dd66b816f30fbe93, 1

	.ident	"AMD clang version 19.0.0git (https://github.com/RadeonOpenCompute/llvm-project roc-6.4.0 25133 c7fe45cf4b819c5991fe208aaa96edf142730f1d)"
	.section	".note.GNU-stack","",@progbits
	.addrsig
	.addrsig_sym __hip_cuid_dd66b816f30fbe93
	.amdgpu_metadata
---
amdhsa.kernels:
  - .args:
      - .actual_access:  read_only
        .address_space:  global
        .offset:         0
        .size:           8
        .value_kind:     global_buffer
      - .actual_access:  read_only
        .address_space:  global
        .offset:         8
        .size:           8
        .value_kind:     global_buffer
      - .actual_access:  read_only
        .address_space:  global
        .offset:         16
        .size:           8
        .value_kind:     global_buffer
      - .actual_access:  read_only
        .address_space:  global
        .offset:         24
        .size:           8
        .value_kind:     global_buffer
      - .offset:         32
        .size:           8
        .value_kind:     by_value
      - .actual_access:  read_only
        .address_space:  global
        .offset:         40
        .size:           8
        .value_kind:     global_buffer
      - .actual_access:  read_only
        .address_space:  global
        .offset:         48
        .size:           8
        .value_kind:     global_buffer
      - .offset:         56
        .size:           4
        .value_kind:     by_value
      - .actual_access:  read_only
        .address_space:  global
        .offset:         64
        .size:           8
        .value_kind:     global_buffer
      - .actual_access:  read_only
        .address_space:  global
        .offset:         72
        .size:           8
        .value_kind:     global_buffer
      - .actual_access:  read_only
        .address_space:  global
        .offset:         80
        .size:           8
        .value_kind:     global_buffer
      - .actual_access:  write_only
        .address_space:  global
        .offset:         88
        .size:           8
        .value_kind:     global_buffer
    .group_segment_fixed_size: 0
    .kernarg_segment_align: 8
    .kernarg_segment_size: 96
    .language:       OpenCL C
    .language_version:
      - 2
      - 0
    .max_flat_workgroup_size: 64
    .name:           fft_rtc_back_len96_factors_2_2_3_8_wgs_64_tpt_8_dim1_sp_op_CI_CI_unitstride_sbrr_R2C_dirReg
    .private_segment_fixed_size: 0
    .sgpr_count:     14
    .sgpr_spill_count: 0
    .symbol:         fft_rtc_back_len96_factors_2_2_3_8_wgs_64_tpt_8_dim1_sp_op_CI_CI_unitstride_sbrr_R2C_dirReg.kd
    .uniform_work_group_size: 1
    .uses_dynamic_stack: false
    .vgpr_count:     66
    .vgpr_spill_count: 0
    .wavefront_size: 32
    .workgroup_processor_mode: 1
amdhsa.target:   amdgcn-amd-amdhsa--gfx1201
amdhsa.version:
  - 1
  - 2
...

	.end_amdgpu_metadata
